;; amdgpu-corpus repo=ROCm/rocFFT kind=compiled arch=gfx906 opt=O3
	.text
	.amdgcn_target "amdgcn-amd-amdhsa--gfx906"
	.amdhsa_code_object_version 6
	.protected	fft_rtc_back_len1331_factors_11_11_11_wgs_121_tpt_121_half_op_CI_CI_sbrc_z_xy_unaligned_dirReg ; -- Begin function fft_rtc_back_len1331_factors_11_11_11_wgs_121_tpt_121_half_op_CI_CI_sbrc_z_xy_unaligned_dirReg
	.globl	fft_rtc_back_len1331_factors_11_11_11_wgs_121_tpt_121_half_op_CI_CI_sbrc_z_xy_unaligned_dirReg
	.p2align	8
	.type	fft_rtc_back_len1331_factors_11_11_11_wgs_121_tpt_121_half_op_CI_CI_sbrc_z_xy_unaligned_dirReg,@function
fft_rtc_back_len1331_factors_11_11_11_wgs_121_tpt_121_half_op_CI_CI_sbrc_z_xy_unaligned_dirReg: ; @fft_rtc_back_len1331_factors_11_11_11_wgs_121_tpt_121_half_op_CI_CI_sbrc_z_xy_unaligned_dirReg
; %bb.0:
	s_load_dwordx8 s[16:23], s[4:5], 0x0
	v_add_u32_e32 v5, 0x79, v0
	v_add_u32_e32 v9, 0xf2, v0
	s_movk_i32 s10, 0x16a
	s_waitcnt lgkmcnt(0)
	s_load_dwordx4 s[0:3], s[20:21], 0x8
	s_waitcnt lgkmcnt(0)
	s_mul_i32 s1, s2, s0
	v_cvt_f32_u32_e32 v2, s1
	v_cvt_f32_u32_e32 v1, s0
	s_sub_i32 s2, 0, s1
	v_rcp_iflag_f32_e32 v2, v2
	v_rcp_iflag_f32_e32 v1, v1
	v_mul_f32_e32 v2, 0x4f7ffffe, v2
	v_cvt_u32_f32_e32 v2, v2
	v_mul_f32_e32 v1, 0x4f7ffffe, v1
	v_cvt_u32_f32_e32 v1, v1
	v_readfirstlane_b32 s7, v2
	s_mul_i32 s2, s2, s7
	s_mul_hi_u32 s2, s7, s2
	s_add_i32 s7, s7, s2
	s_mul_hi_u32 s2, s6, s7
	s_mul_i32 s7, s2, s1
	s_sub_i32 s7, s6, s7
	s_add_i32 s8, s2, 1
	s_sub_i32 s9, s7, s1
	s_cmp_ge_u32 s7, s1
	s_cselect_b32 s2, s8, s2
	s_cselect_b32 s7, s9, s7
	s_add_i32 s8, s2, 1
	s_cmp_ge_u32 s7, s1
	v_readfirstlane_b32 s3, v1
	s_cselect_b32 s33, s8, s2
	s_sub_i32 s2, 0, s0
	s_mul_i32 s2, s2, s3
	s_mul_i32 s1, s33, s1
	s_mul_hi_u32 s2, s3, s2
	s_sub_i32 s1, s6, s1
	s_add_i32 s3, s3, s2
	s_mul_hi_u32 s2, s1, s3
	s_mul_i32 s7, s2, s0
	s_sub_i32 s1, s1, s7
	s_add_i32 s8, s2, 1
	s_sub_i32 s7, s1, s0
	s_cmp_ge_u32 s1, s0
	s_cselect_b32 s2, s8, s2
	s_mul_hi_u32 s3, s6, s3
	s_cselect_b32 s1, s7, s1
	s_add_i32 s7, s2, 1
	s_mul_i32 s3, s3, s0
	s_cmp_ge_u32 s1, s0
	s_cselect_b32 s20, s7, s2
	s_sub_i32 s1, s6, s3
	s_load_dwordx2 s[2:3], s[4:5], 0x20
	s_sub_i32 s6, s1, s0
	s_cmp_ge_u32 s1, s0
	s_load_dwordx4 s[24:27], s[4:5], 0x58
	s_waitcnt lgkmcnt(0)
	s_load_dwordx4 s[28:31], s[2:3], 0x0
	s_cselect_b32 s1, s6, s1
	s_sub_i32 s4, s1, s0
	s_cmp_ge_u32 s1, s0
	s_cselect_b32 s34, s4, s1
	s_waitcnt lgkmcnt(0)
	s_mul_i32 s0, s29, s34
	s_mul_hi_u32 s1, s28, s34
	s_add_i32 s21, s1, s0
	s_lshl_b64 s[0:1], s[18:19], 3
	s_load_dword s35, s[2:3], 0x10
	s_add_u32 s2, s2, s0
	s_addc_u32 s3, s3, s1
	s_load_dwordx2 s[18:19], s[2:3], 0x0
	s_mov_b32 s31, 0
	s_movk_i32 s8, 0x1e3
	s_mul_i32 s30, s20, s30
	s_waitcnt lgkmcnt(0)
	s_mul_i32 s2, s19, s33
	s_mul_hi_u32 s3, s18, s33
	s_add_i32 s19, s3, s2
	s_add_u32 s0, s22, s0
	s_addc_u32 s1, s23, s1
	s_load_dwordx2 s[2:3], s[0:1], 0x0
	s_load_dwordx4 s[12:15], s[22:23], 0x0
	s_load_dword s4, s[22:23], 0x10
	s_movk_i32 s23, 0x1e4
	v_cmp_gt_u32_e64 s[6:7], s23, v0
	s_waitcnt lgkmcnt(0)
	s_mul_i32 s3, s3, s33
	v_mad_u64_u32 v[1:2], s[0:1], s12, v0, 0
	s_mul_hi_u32 s5, s2, s33
	s_add_i32 s1, s5, s3
	s_mul_i32 s0, s2, s33
	v_mad_u64_u32 v[2:3], s[2:3], s13, v0, v[2:3]
	s_mul_i32 s4, s20, s4
	s_mul_i32 s2, s34, s14
	s_add_i32 s2, s2, s4
	s_lshl_b64 s[0:1], s[0:1], 2
	s_mov_b32 s3, s31
	s_add_u32 s4, s24, s0
	s_addc_u32 s5, s25, s1
	s_lshl_b64 s[0:1], s[2:3], 2
	v_mad_u64_u32 v[3:4], s[2:3], s12, v5, 0
	s_add_u32 s15, s4, s0
	s_addc_u32 s24, s5, s1
	v_mad_u64_u32 v[4:5], s[0:1], s13, v5, v[4:5]
	v_lshlrev_b64 v[1:2], 2, v[1:2]
	v_mad_u64_u32 v[7:8], s[0:1], s12, v9, 0
	v_mov_b32_e32 v6, s24
	v_add_co_u32_e32 v5, vcc, s15, v1
	v_lshlrev_b64 v[3:4], 2, v[3:4]
	v_addc_co_u32_e32 v6, vcc, v6, v2, vcc
	v_mov_b32_e32 v1, s24
	v_add_co_u32_e32 v3, vcc, s15, v3
	v_mov_b32_e32 v2, 0
	v_addc_co_u32_e32 v4, vcc, v1, v4, vcc
	v_mov_b32_e32 v1, v8
	v_mad_u64_u32 v[8:9], s[0:1], s13, v9, v[1:2]
	s_movk_i32 s0, 0x3c8
	v_mov_b32_e32 v1, 0xfffffc38
	v_mov_b32_e32 v9, 0x16b
	v_cmp_gt_u32_e32 vcc, s0, v0
	v_cndmask_b32_e32 v25, v1, v9, vcc
	v_add_u32_e32 v11, v25, v0
	v_mad_u64_u32 v[9:10], s[0:1], s12, v11, 0
	v_lshlrev_b64 v[7:8], 2, v[7:8]
	v_mov_b32_e32 v12, s24
	v_mov_b32_e32 v1, v10
	v_mad_u64_u32 v[10:11], s[0:1], s13, v11, v[1:2]
	v_add_co_u32_e32 v7, vcc, s15, v7
	v_addc_co_u32_e32 v8, vcc, v12, v8, vcc
	s_movk_i32 s0, 0x3c7
	v_cmp_lt_u32_e32 vcc, s0, v0
	s_movk_i32 s0, 0x34f
	v_mov_b32_e32 v11, 0xfffffcb1
	v_mov_b32_e32 v12, 0x1e4
	v_cmp_gt_u32_e64 s[0:1], s0, v0
	v_cndmask_b32_e64 v27, v11, v12, s[0:1]
	v_add_u32_e32 v14, v27, v0
	v_mad_u64_u32 v[11:12], s[0:1], s12, v14, 0
	v_lshlrev_b64 v[9:10], 2, v[9:10]
	v_mov_b32_e32 v26, s14
	v_cndmask_b32_e32 v1, 0, v26, vcc
	v_mov_b32_e32 v13, s24
	v_add_co_u32_e64 v15, s[0:1], s15, v9
	v_addc_co_u32_e64 v16, s[0:1], v13, v10, s[0:1]
	v_lshlrev_b64 v[9:10], 2, v[1:2]
	v_mov_b32_e32 v1, v12
	v_mad_u64_u32 v[12:13], s[0:1], s13, v14, v[1:2]
	s_movk_i32 s2, 0x2d6
	v_mov_b32_e32 v13, 0xfffffd2a
	v_mov_b32_e32 v14, 0x25d
	v_cmp_gt_u32_e64 s[2:3], s2, v0
	v_add_co_u32_e64 v9, s[0:1], v15, v9
	v_cndmask_b32_e64 v28, v13, v14, s[2:3]
	v_addc_co_u32_e64 v10, s[0:1], v16, v10, s[0:1]
	v_add_u32_e32 v16, v28, v0
	v_mad_u64_u32 v[13:14], s[2:3], s12, v16, 0
	s_movk_i32 s0, 0x34e
	v_lshlrev_b64 v[11:12], 2, v[11:12]
	v_cmp_lt_u32_e64 s[0:1], s0, v0
	v_cndmask_b32_e64 v1, 0, v26, s[0:1]
	v_mov_b32_e32 v15, s24
	v_add_co_u32_e64 v17, s[2:3], s15, v11
	v_addc_co_u32_e64 v18, s[2:3], v15, v12, s[2:3]
	v_lshlrev_b64 v[11:12], 2, v[1:2]
	v_mov_b32_e32 v1, v14
	v_mad_u64_u32 v[14:15], s[2:3], s13, v16, v[1:2]
	s_movk_i32 s4, 0x25d
	v_mov_b32_e32 v15, 0xfffffda3
	v_mov_b32_e32 v16, 0x2d6
	v_cmp_gt_u32_e64 s[4:5], s4, v0
	v_add_co_u32_e64 v11, s[2:3], v17, v11
	v_cndmask_b32_e64 v29, v15, v16, s[4:5]
	v_addc_co_u32_e64 v12, s[2:3], v18, v12, s[2:3]
	v_add_u32_e32 v18, v29, v0
	v_mad_u64_u32 v[15:16], s[4:5], s12, v18, 0
	s_movk_i32 s2, 0x2d5
	v_lshlrev_b64 v[13:14], 2, v[13:14]
	v_cmp_lt_u32_e64 s[2:3], s2, v0
	v_cndmask_b32_e64 v1, 0, v26, s[2:3]
	v_mov_b32_e32 v17, s24
	v_add_co_u32_e64 v19, s[4:5], s15, v13
	v_addc_co_u32_e64 v20, s[4:5], v17, v14, s[4:5]
	v_lshlrev_b64 v[13:14], 2, v[1:2]
	v_mov_b32_e32 v1, v16
	v_mad_u64_u32 v[16:17], s[4:5], s13, v18, v[1:2]
	v_mov_b32_e32 v17, 0xfffffe1c
	v_mov_b32_e32 v18, 0x34f
	v_add_co_u32_e64 v13, s[4:5], v19, v13
	v_cndmask_b32_e64 v30, v17, v18, s[6:7]
	v_addc_co_u32_e64 v14, s[4:5], v20, v14, s[4:5]
	v_add_u32_e32 v20, v30, v0
	v_mad_u64_u32 v[17:18], s[6:7], s12, v20, 0
	s_movk_i32 s4, 0x25c
	v_lshlrev_b64 v[15:16], 2, v[15:16]
	v_cmp_lt_u32_e64 s[4:5], s4, v0
	v_cndmask_b32_e64 v1, 0, v26, s[4:5]
	v_mov_b32_e32 v19, s24
	v_add_co_u32_e64 v21, s[6:7], s15, v15
	v_addc_co_u32_e64 v22, s[6:7], v19, v16, s[6:7]
	v_lshlrev_b64 v[15:16], 2, v[1:2]
	v_mov_b32_e32 v1, v18
	v_mad_u64_u32 v[18:19], s[6:7], s13, v20, v[1:2]
	v_add_co_u32_e64 v15, s[6:7], v21, v15
	v_lshlrev_b64 v[17:18], 2, v[17:18]
	v_addc_co_u32_e64 v16, s[6:7], v22, v16, s[6:7]
	v_mov_b32_e32 v1, s24
	v_add_co_u32_e64 v23, s[6:7], s15, v17
	v_addc_co_u32_e64 v24, s[6:7], v1, v18, s[6:7]
	s_movk_i32 s6, 0x16b
	v_mov_b32_e32 v1, 0xfffffe95
	v_mov_b32_e32 v17, 0x3c8
	v_cmp_gt_u32_e64 s[6:7], s6, v0
	v_cndmask_b32_e64 v31, v1, v17, s[6:7]
	v_add_u32_e32 v21, v31, v0
	v_mad_u64_u32 v[17:18], s[6:7], s12, v21, 0
	v_cmp_lt_u32_e64 s[6:7], s8, v0
	v_cndmask_b32_e64 v1, 0, v26, s[6:7]
	v_lshlrev_b64 v[19:20], 2, v[1:2]
	v_mov_b32_e32 v1, v18
	v_mad_u64_u32 v[21:22], s[8:9], s13, v21, v[1:2]
	v_add_co_u32_e64 v19, s[8:9], v23, v19
	v_mov_b32_e32 v18, v21
	v_lshlrev_b64 v[17:18], 2, v[17:18]
	v_addc_co_u32_e64 v20, s[8:9], v24, v20, s[8:9]
	v_mov_b32_e32 v1, s24
	v_add_co_u32_e64 v32, s[8:9], s15, v17
	v_addc_co_u32_e64 v33, s[8:9], v1, v18, s[8:9]
	s_movk_i32 s8, 0xf2
	v_mov_b32_e32 v1, 0xffffff0e
	v_mov_b32_e32 v17, 0x441
	v_cmp_gt_u32_e64 s[8:9], s8, v0
	v_cndmask_b32_e64 v34, v1, v17, s[8:9]
	v_add_u32_e32 v23, v34, v0
	v_mad_u64_u32 v[17:18], s[8:9], s12, v23, 0
	v_cmp_lt_u32_e64 s[8:9], s10, v0
	v_cndmask_b32_e64 v1, 0, v26, s[8:9]
	v_lshlrev_b64 v[21:22], 2, v[1:2]
	v_mov_b32_e32 v1, v18
	v_mad_u64_u32 v[23:24], s[10:11], s13, v23, v[1:2]
	v_add_co_u32_e64 v21, s[10:11], v32, v21
	v_mov_b32_e32 v18, v23
	v_lshlrev_b64 v[17:18], 2, v[17:18]
	v_addc_co_u32_e64 v22, s[10:11], v33, v22, s[10:11]
	v_mov_b32_e32 v1, s24
	v_add_co_u32_e64 v17, s[10:11], s15, v17
	v_addc_co_u32_e64 v18, s[10:11], v1, v18, s[10:11]
	s_movk_i32 s22, 0x79
	v_mov_b32_e32 v1, 0xffffff87
	v_mov_b32_e32 v23, 0x4ba
	v_cmp_gt_u32_e64 s[10:11], s22, v0
	v_cndmask_b32_e64 v23, v1, v23, s[10:11]
	v_add_u32_e32 v24, v23, v0
	global_load_dword v32, v[5:6], off
	global_load_dword v33, v[3:4], off
	;; [unrolled: 1-line block ×3, first 2 shown]
	v_mad_u64_u32 v[3:4], s[10:11], s12, v24, 0
	s_movk_i32 s14, 0xf1
	v_cmp_lt_u32_e64 s[10:11], s14, v0
	v_cndmask_b32_e64 v1, 0, v26, s[10:11]
	v_lshlrev_b64 v[5:6], 2, v[1:2]
	v_mov_b32_e32 v1, v4
	v_mad_u64_u32 v[7:8], s[12:13], s13, v24, v[1:2]
	global_load_dword v36, v[9:10], off
	global_load_dword v37, v[11:12], off
	v_add_co_u32_e64 v5, s[12:13], v17, v5
	v_mov_b32_e32 v4, v7
	v_lshlrev_b64 v[3:4], 2, v[3:4]
	v_addc_co_u32_e64 v6, s[12:13], v18, v6, s[12:13]
	global_load_dword v8, v[13:14], off
	v_mov_b32_e32 v1, s24
	v_add_co_u32_e64 v10, s[12:13], s15, v3
	v_addc_co_u32_e64 v11, s[12:13], v1, v4, s[12:13]
	global_load_dword v7, v[15:16], off
	global_load_dword v9, v[19:20], off
	s_movk_i32 s12, 0x78
	v_cmp_lt_u32_e64 s[12:13], s12, v0
	v_cndmask_b32_e64 v1, 0, v26, s[12:13]
	global_load_dword v12, v[21:22], off
	v_lshlrev_b64 v[3:4], 2, v[1:2]
	global_load_dword v5, v[5:6], off
	v_add_co_u32_e64 v3, s[14:15], v10, v3
	v_addc_co_u32_e64 v4, s[14:15], v11, v4, s[14:15]
	global_load_dword v3, v[3:4], off
	v_cndmask_b32_e64 v4, 0, 1, vcc
	v_lshl_add_u32 v1, v0, 2, 0
	v_lshlrev_b32_e32 v17, 2, v25
	v_lshlrev_b32_e32 v4, 2, v4
	v_cndmask_b32_e64 v6, 0, 1, s[0:1]
	v_add3_u32 v4, v1, v17, v4
	s_waitcnt vmcnt(9)
	ds_write2_b32 v1, v32, v33 offset1:121
	s_waitcnt vmcnt(8)
	ds_write_b32 v1, v35 offset:968
	v_lshlrev_b32_e32 v6, 2, v6
	v_cndmask_b32_e64 v10, 0, 1, s[2:3]
	v_cndmask_b32_e64 v11, 0, 1, s[4:5]
	;; [unrolled: 1-line block ×6, first 2 shown]
	s_mov_b32 s5, 0xb853
	s_waitcnt vmcnt(7)
	ds_write_b32 v4, v36
	v_lshlrev_b32_e32 v4, 2, v27
	v_add3_u32 v4, v1, v4, v6
	s_waitcnt vmcnt(6)
	ds_write_b32 v4, v37
	v_lshlrev_b32_e32 v4, 2, v28
	v_lshlrev_b32_e32 v6, 2, v10
	v_add3_u32 v4, v1, v4, v6
	v_lshlrev_b32_e32 v6, 2, v11
	s_waitcnt vmcnt(5)
	ds_write_b32 v4, v8
	v_lshlrev_b32_e32 v4, 2, v29
	v_add3_u32 v4, v1, v4, v6
	v_lshlrev_b32_e32 v6, 2, v13
	s_mov_b32 s0, 0xbb47
	s_waitcnt vmcnt(4)
	ds_write_b32 v4, v7
	v_lshlrev_b32_e32 v4, 2, v30
	v_add3_u32 v4, v1, v4, v6
	s_waitcnt vmcnt(3)
	ds_write_b32 v4, v9
	v_lshlrev_b32_e32 v4, 2, v31
	v_lshlrev_b32_e32 v6, 2, v14
	v_add3_u32 v4, v1, v4, v6
	s_waitcnt vmcnt(2)
	ds_write_b32 v4, v12
	v_lshlrev_b32_e32 v4, 2, v34
	v_lshlrev_b32_e32 v6, 2, v15
	v_add3_u32 v4, v1, v4, v6
	s_waitcnt vmcnt(1)
	ds_write_b32 v4, v5
	v_lshlrev_b32_e32 v4, 2, v23
	v_lshlrev_b32_e32 v5, 2, v16
	v_add3_u32 v4, v1, v4, v5
	s_waitcnt vmcnt(0)
	ds_write_b32 v4, v3
	s_waitcnt lgkmcnt(0)
	s_barrier
	ds_read2_b32 v[4:5], v1 offset1:121
	ds_read_b32 v13, v1 offset:4840
	s_mov_b32 s4, 0xbbeb
	s_mov_b32 s7, 0xba0c
	s_movk_i32 s2, 0x3abb
	s_movk_i32 s3, 0x36a6
	s_waitcnt lgkmcnt(0)
	v_pk_add_f16 v8, v5, v13 neg_lo:[0,1] neg_hi:[0,1]
	v_pk_add_f16 v7, v13, v5
	v_mul_f16_sdwa v9, v8, s5 dst_sel:DWORD dst_unused:UNUSED_PAD src0_sel:WORD_1 src1_sel:DWORD
	v_mul_f16_sdwa v14, v8, s0 dst_sel:DWORD dst_unused:UNUSED_PAD src0_sel:WORD_1 src1_sel:DWORD
	;; [unrolled: 1-line block ×3, first 2 shown]
	s_mov_b32 s6, 0xb08e
	v_mul_f16_sdwa v22, v8, s7 dst_sel:DWORD dst_unused:UNUSED_PAD src0_sel:WORD_1 src1_sel:DWORD
	s_mov_b32 s10, 0xb93d
	s_mov_b32 s12, 0xbbad
	v_add_u32_e32 v3, 0x200, v1
	v_fma_f16 v10, v7, s2, v9
	v_mul_f16_sdwa v11, v7, s2 dst_sel:DWORD dst_unused:UNUSED_PAD src0_sel:WORD_1 src1_sel:DWORD
	s_movk_i32 s1, 0x3853
	v_fma_f16 v9, v7, s2, -v9
	v_fma_f16 v15, v7, s3, v14
	v_mul_f16_sdwa v16, v7, s3 dst_sel:DWORD dst_unused:UNUSED_PAD src0_sel:WORD_1 src1_sel:DWORD
	s_movk_i32 s11, 0x3b47
	v_fma_f16 v14, v7, s3, -v14
	;; [unrolled: 4-line block ×4, first 2 shown]
	v_pk_mul_f16 v7, v7, s12 op_sel_hi:[1,0]
	s_mov_b32 s9, 0xb482
	v_fma_f16 v12, v8, s1, v11
	v_fma_f16 v11, v8, s5, v11
	;; [unrolled: 1-line block ×8, first 2 shown]
	v_pk_fma_f16 v26, v8, s9, v7 op_sel:[0,0,1] op_sel_hi:[1,0,0]
	v_pk_fma_f16 v27, v8, s9, v7 op_sel:[0,0,1] op_sel_hi:[1,0,0] neg_lo:[1,0,0] neg_hi:[1,0,0]
	ds_read2_b32 v[7:8], v3 offset0:114 offset1:235
	v_pk_add_f16 v6, v5, v4 op_sel_hi:[1,0]
	v_alignbit_b32 v5, s0, v5, 16
	v_pk_add_f16 v5, v5, v4 op_sel:[0,1] op_sel_hi:[1,0]
	v_add_f16_e32 v28, v10, v4
	v_add_f16_sdwa v29, v12, v4 dst_sel:DWORD dst_unused:UNUSED_PAD src0_sel:DWORD src1_sel:WORD_1
	v_add_f16_e32 v30, v9, v4
	v_add_f16_sdwa v31, v11, v4 dst_sel:DWORD dst_unused:UNUSED_PAD src0_sel:DWORD src1_sel:WORD_1
	;; [unrolled: 2-line block ×8, first 2 shown]
	v_pk_add_f16 v26, v26, v4 op_sel:[0,1] op_sel_hi:[1,0]
	v_pk_add_f16 v27, v27, v4 op_sel:[0,1] op_sel_hi:[1,0]
	s_waitcnt lgkmcnt(0)
	v_alignbit_b32 v4, s0, v7, 16
	v_pk_add_f16 v4, v5, v4
	v_add_u32_e32 v5, 0x600, v1
	ds_read2_b32 v[9:10], v5 offset0:100 offset1:221
	v_alignbit_b32 v11, s0, v8, 16
	v_pk_add_f16 v32, v4, v11
	v_add_u32_e32 v4, 0xa00, v1
	ds_read2_b32 v[11:12], v4 offset0:86 offset1:207
	s_waitcnt lgkmcnt(1)
	v_alignbit_b32 v33, s0, v9, 16
	v_pk_add_f16 v6, v6, v7
	v_pk_add_f16 v32, v32, v33
	v_alignbit_b32 v33, s0, v10, 16
	v_pk_add_f16 v6, v6, v8
	v_pk_add_f16 v32, v32, v33
	s_waitcnt lgkmcnt(0)
	v_alignbit_b32 v33, s0, v11, 16
	v_pk_add_f16 v6, v6, v9
	v_pk_add_f16 v32, v32, v33
	;; [unrolled: 1-line block ×3, first 2 shown]
	v_add_u32_e32 v6, 0xe00, v1
	v_pk_add_f16 v34, v12, v9
	v_pk_add_f16 v35, v9, v12 neg_lo:[0,1] neg_hi:[0,1]
	v_pk_add_f16 v36, v11, v10
	v_pk_add_f16 v37, v10, v11 neg_lo:[0,1] neg_hi:[0,1]
	ds_read2_b32 v[9:10], v6 offset0:72 offset1:193
	v_pk_add_f16 v11, v33, v11
	v_pk_add_f16 v11, v11, v12
	v_alignbit_b32 v12, s0, v12, 16
	v_pk_add_f16 v12, v32, v12
	s_waitcnt lgkmcnt(0)
	v_alignbit_b32 v32, s0, v9, 16
	v_pk_add_f16 v33, v9, v8
	v_pk_add_f16 v8, v8, v9 neg_lo:[0,1] neg_hi:[0,1]
	v_pk_add_f16 v9, v11, v9
	v_pk_add_f16 v12, v12, v32
	;; [unrolled: 1-line block ×3, first 2 shown]
	v_pk_add_f16 v7, v7, v10 neg_lo:[0,1] neg_hi:[0,1]
	v_pk_add_f16 v9, v9, v10
	v_alignbit_b32 v10, s0, v10, 16
	v_pk_add_f16 v10, v12, v10
	v_alignbit_b32 v11, s0, v13, 16
	v_pk_add_f16 v9, v9, v13
	v_pk_add_f16 v10, v10, v11
	s_mov_b32 s14, 0x1000504
	v_perm_b32 v9, v9, v10, s14
	v_mul_f16_sdwa v10, v7, s0 dst_sel:DWORD dst_unused:UNUSED_PAD src0_sel:WORD_1 src1_sel:DWORD
	v_fma_f16 v11, v32, s3, v10
	v_mul_f16_sdwa v12, v32, s3 dst_sel:DWORD dst_unused:UNUSED_PAD src0_sel:WORD_1 src1_sel:DWORD
	v_add_f16_e32 v11, v11, v28
	v_fma_f16 v13, v7, s11, v12
	v_mul_f16_sdwa v28, v7, s7 dst_sel:DWORD dst_unused:UNUSED_PAD src0_sel:WORD_1 src1_sel:DWORD
	v_add_f16_e32 v13, v13, v29
	v_fma_f16 v29, v32, s10, v28
	v_add_f16_e32 v15, v29, v15
	v_mul_f16_sdwa v29, v32, s10 dst_sel:DWORD dst_unused:UNUSED_PAD src0_sel:WORD_1 src1_sel:DWORD
	v_fma_f16 v28, v32, s10, -v28
	v_add_f16_e32 v14, v28, v14
	v_fma_f16 v28, v7, s7, v29
	s_movk_i32 s14, 0x3482
	v_fma_f16 v10, v32, s3, -v10
	v_add_f16_e32 v16, v28, v16
	v_mul_f16_sdwa v28, v7, s14 dst_sel:DWORD dst_unused:UNUSED_PAD src0_sel:WORD_1 src1_sel:DWORD
	v_add_f16_e32 v10, v10, v30
	v_fma_f16 v30, v7, s13, v29
	v_fma_f16 v29, v32, s12, v28
	v_add_f16_e32 v19, v29, v19
	v_mul_f16_sdwa v29, v32, s12 dst_sel:DWORD dst_unused:UNUSED_PAD src0_sel:WORD_1 src1_sel:DWORD
	v_fma_f16 v28, v32, s12, -v28
	v_add_f16_e32 v18, v28, v18
	v_fma_f16 v28, v7, s14, v29
	v_add_f16_e32 v20, v28, v20
	v_mul_f16_sdwa v28, v7, s8 dst_sel:DWORD dst_unused:UNUSED_PAD src0_sel:WORD_1 src1_sel:DWORD
	v_add_f16_e32 v17, v30, v17
	v_fma_f16 v30, v7, s9, v29
	v_fma_f16 v29, v32, s6, v28
	v_add_f16_e32 v23, v29, v23
	v_mul_f16_sdwa v29, v32, s6 dst_sel:DWORD dst_unused:UNUSED_PAD src0_sel:WORD_1 src1_sel:DWORD
	v_fma_f16 v28, v32, s6, -v28
	v_add_f16_e32 v22, v28, v22
	v_fma_f16 v28, v7, s8, v29
	v_add_f16_e32 v24, v28, v24
	v_pk_mul_f16 v28, v32, s2 op_sel_hi:[1,0]
	v_fma_f16 v12, v7, s0, v12
	v_add_f16_e32 v21, v30, v21
	v_fma_f16 v30, v7, s4, v29
	v_pk_fma_f16 v29, v7, s1, v28 op_sel:[0,0,1] op_sel_hi:[1,0,0]
	v_pk_fma_f16 v7, v7, s1, v28 op_sel:[0,0,1] op_sel_hi:[1,0,0] neg_lo:[1,0,0] neg_hi:[1,0,0]
	v_pk_add_f16 v7, v7, v27
	v_mul_f16_sdwa v27, v8, s4 dst_sel:DWORD dst_unused:UNUSED_PAD src0_sel:WORD_1 src1_sel:DWORD
	v_fma_f16 v28, v33, s6, v27
	v_add_f16_e32 v11, v28, v11
	v_mul_f16_sdwa v28, v33, s6 dst_sel:DWORD dst_unused:UNUSED_PAD src0_sel:WORD_1 src1_sel:DWORD
	v_fma_f16 v27, v33, s6, -v27
	v_add_f16_e32 v12, v12, v31
	v_add_f16_e32 v10, v27, v10
	v_fma_f16 v27, v8, s4, v28
	v_add_f16_e32 v12, v27, v12
	v_mul_f16_sdwa v27, v8, s14 dst_sel:DWORD dst_unused:UNUSED_PAD src0_sel:WORD_1 src1_sel:DWORD
	v_pk_add_f16 v26, v29, v26
	v_fma_f16 v29, v8, s8, v28
	v_fma_f16 v28, v33, s12, v27
	v_add_f16_e32 v15, v28, v15
	v_mul_f16_sdwa v28, v33, s12 dst_sel:DWORD dst_unused:UNUSED_PAD src0_sel:WORD_1 src1_sel:DWORD
	v_fma_f16 v27, v33, s12, -v27
	v_add_f16_e32 v14, v27, v14
	v_fma_f16 v27, v8, s14, v28
	v_add_f16_e32 v16, v27, v16
	v_mul_f16_sdwa v27, v8, s11 dst_sel:DWORD dst_unused:UNUSED_PAD src0_sel:WORD_1 src1_sel:DWORD
	v_add_f16_e32 v13, v29, v13
	v_fma_f16 v29, v8, s9, v28
	v_fma_f16 v28, v33, s3, v27
	v_add_f16_e32 v19, v28, v19
	v_mul_f16_sdwa v28, v33, s3 dst_sel:DWORD dst_unused:UNUSED_PAD src0_sel:WORD_1 src1_sel:DWORD
	v_fma_f16 v27, v33, s3, -v27
	v_add_f16_e32 v18, v27, v18
	v_fma_f16 v27, v8, s11, v28
	v_add_f16_e32 v20, v27, v20
	v_mul_f16_sdwa v27, v8, s5 dst_sel:DWORD dst_unused:UNUSED_PAD src0_sel:WORD_1 src1_sel:DWORD
	v_add_f16_e32 v17, v29, v17
	v_fma_f16 v29, v8, s0, v28
	v_fma_f16 v28, v33, s2, v27
	v_add_f16_e32 v23, v28, v23
	v_mul_f16_sdwa v28, v33, s2 dst_sel:DWORD dst_unused:UNUSED_PAD src0_sel:WORD_1 src1_sel:DWORD
	v_fma_f16 v27, v33, s2, -v27
	v_add_f16_e32 v22, v27, v22
	v_fma_f16 v27, v8, s5, v28
	v_add_f16_e32 v24, v27, v24
	v_pk_mul_f16 v27, v33, s10 op_sel_hi:[1,0]
	v_add_f16_e32 v21, v29, v21
	v_fma_f16 v29, v8, s1, v28
	v_pk_fma_f16 v28, v8, s7, v27 op_sel:[0,0,1] op_sel_hi:[1,0,0]
	v_pk_fma_f16 v8, v8, s7, v27 op_sel:[0,0,1] op_sel_hi:[1,0,0] neg_lo:[1,0,0] neg_hi:[1,0,0]
	v_pk_add_f16 v7, v8, v7
	v_mul_f16_sdwa v8, v35, s7 dst_sel:DWORD dst_unused:UNUSED_PAD src0_sel:WORD_1 src1_sel:DWORD
	v_fma_f16 v27, v34, s10, v8
	v_add_f16_e32 v11, v27, v11
	v_mul_f16_sdwa v27, v34, s10 dst_sel:DWORD dst_unused:UNUSED_PAD src0_sel:WORD_1 src1_sel:DWORD
	v_fma_f16 v8, v34, s10, -v8
	v_add_f16_e32 v8, v8, v10
	v_fma_f16 v10, v35, s7, v27
	v_add_f16_e32 v10, v10, v12
	v_mul_f16_sdwa v12, v35, s8 dst_sel:DWORD dst_unused:UNUSED_PAD src0_sel:WORD_1 src1_sel:DWORD
	v_pk_add_f16 v26, v28, v26
	v_fma_f16 v28, v35, s13, v27
	v_fma_f16 v27, v34, s6, v12
	v_add_f16_e32 v15, v27, v15
	v_mul_f16_sdwa v27, v34, s6 dst_sel:DWORD dst_unused:UNUSED_PAD src0_sel:WORD_1 src1_sel:DWORD
	v_fma_f16 v12, v34, s6, -v12
	v_add_f16_e32 v12, v12, v14
	v_fma_f16 v14, v35, s8, v27
	v_add_f16_e32 v14, v14, v16
	v_mul_f16_sdwa v16, v35, s5 dst_sel:DWORD dst_unused:UNUSED_PAD src0_sel:WORD_1 src1_sel:DWORD
	v_add_f16_e32 v13, v28, v13
	v_fma_f16 v28, v35, s4, v27
	v_fma_f16 v27, v34, s2, v16
	v_add_f16_e32 v19, v27, v19
	v_mul_f16_sdwa v27, v34, s2 dst_sel:DWORD dst_unused:UNUSED_PAD src0_sel:WORD_1 src1_sel:DWORD
	v_fma_f16 v16, v34, s2, -v16
	v_add_f16_e32 v16, v16, v18
	v_fma_f16 v18, v35, s5, v27
	v_add_f16_e32 v18, v18, v20
	v_mul_f16_sdwa v20, v35, s9 dst_sel:DWORD dst_unused:UNUSED_PAD src0_sel:WORD_1 src1_sel:DWORD
	v_add_f16_e32 v17, v28, v17
	v_fma_f16 v28, v35, s1, v27
	v_fma_f16 v27, v34, s12, v20
	v_add_f16_e32 v23, v27, v23
	v_mul_f16_sdwa v27, v34, s12 dst_sel:DWORD dst_unused:UNUSED_PAD src0_sel:WORD_1 src1_sel:DWORD
	v_fma_f16 v20, v34, s12, -v20
	v_add_f16_e32 v20, v20, v22
	v_fma_f16 v22, v35, s9, v27
	v_add_f16_e32 v22, v22, v24
	v_pk_mul_f16 v24, v34, s3 op_sel_hi:[1,0]
	v_add_f16_e32 v21, v28, v21
	v_fma_f16 v28, v35, s14, v27
	v_pk_fma_f16 v27, v35, s11, v24 op_sel:[0,0,1] op_sel_hi:[1,0,0]
	v_pk_fma_f16 v24, v35, s11, v24 op_sel:[0,0,1] op_sel_hi:[1,0,0] neg_lo:[1,0,0] neg_hi:[1,0,0]
	v_pk_add_f16 v7, v24, v7
	v_mul_f16_sdwa v24, v37, s9 dst_sel:DWORD dst_unused:UNUSED_PAD src0_sel:WORD_1 src1_sel:DWORD
	v_pk_add_f16 v26, v27, v26
	v_fma_f16 v27, v36, s12, v24
	v_add_f16_e32 v11, v27, v11
	v_mul_f16_sdwa v27, v36, s12 dst_sel:DWORD dst_unused:UNUSED_PAD src0_sel:WORD_1 src1_sel:DWORD
	v_fma_f16 v24, v36, s12, -v24
	v_add_f16_e32 v25, v30, v25
	v_add_f16_e32 v8, v24, v8
	v_fma_f16 v24, v37, s9, v27
	v_add_f16_e32 v25, v29, v25
	v_add_f16_e32 v10, v24, v10
	v_mul_f16_sdwa v24, v37, s1 dst_sel:DWORD dst_unused:UNUSED_PAD src0_sel:WORD_1 src1_sel:DWORD
	v_add_f16_e32 v25, v28, v25
	v_fma_f16 v28, v37, s14, v27
	v_fma_f16 v27, v36, s2, v24
	v_add_f16_e32 v15, v27, v15
	v_mul_f16_sdwa v27, v36, s2 dst_sel:DWORD dst_unused:UNUSED_PAD src0_sel:WORD_1 src1_sel:DWORD
	v_fma_f16 v24, v36, s2, -v24
	v_add_f16_e32 v12, v24, v12
	v_fma_f16 v24, v37, s1, v27
	v_add_f16_e32 v14, v24, v14
	v_mul_f16_sdwa v24, v37, s7 dst_sel:DWORD dst_unused:UNUSED_PAD src0_sel:WORD_1 src1_sel:DWORD
	v_add_f16_e32 v13, v28, v13
	v_fma_f16 v28, v37, s5, v27
	v_fma_f16 v27, v36, s10, v24
	v_add_f16_e32 v19, v27, v19
	v_mul_f16_sdwa v27, v36, s10 dst_sel:DWORD dst_unused:UNUSED_PAD src0_sel:WORD_1 src1_sel:DWORD
	v_fma_f16 v24, v36, s10, -v24
	v_add_f16_e32 v16, v24, v16
	v_fma_f16 v24, v37, s7, v27
	;; [unrolled: 10-line block ×3, first 2 shown]
	v_add_f16_e32 v22, v24, v22
	v_pk_mul_f16 v24, v36, s6 op_sel_hi:[1,0]
	v_add_f16_e32 v21, v28, v21
	v_fma_f16 v28, v37, s0, v27
	v_pk_fma_f16 v27, v37, s4, v24 op_sel:[0,0,1] op_sel_hi:[1,0,0]
	v_pk_fma_f16 v24, v37, s4, v24 op_sel:[0,0,1] op_sel_hi:[1,0,0] neg_lo:[1,0,0] neg_hi:[1,0,0]
	v_pk_add_f16 v7, v24, v7
	v_mad_u32_u24 v24, v0, 44, 0
	v_add_f16_e32 v25, v28, v25
	s_barrier
	ds_write_b32 v24, v9
	v_pack_b32_f16 v9, v15, v17
	v_pack_b32_f16 v11, v11, v13
	v_pk_add_f16 v26, v27, v26
	ds_write2_b32 v24, v11, v9 offset0:1 offset1:2
	v_pack_b32_f16 v9, v23, v25
	v_pack_b32_f16 v11, v19, v21
	ds_write2_b32 v24, v11, v9 offset0:3 offset1:4
	v_alignbit_b32 v9, v26, v7, 16
	v_alignbit_b32 v7, v7, v26, 16
	ds_write2_b32 v24, v7, v9 offset0:5 offset1:6
	v_pack_b32_f16 v7, v16, v18
	v_pack_b32_f16 v9, v20, v22
	ds_write2_b32 v24, v9, v7 offset0:7 offset1:8
	v_pack_b32_f16 v7, v8, v10
	v_pack_b32_f16 v8, v12, v14
	ds_write2_b32 v24, v8, v7 offset0:9 offset1:10
	v_mul_u32_u24_e32 v21, 0x1746, v0
	v_mov_b32_e32 v7, 11
	v_mul_lo_u16_sdwa v7, v21, v7 dst_sel:DWORD dst_unused:UNUSED_PAD src0_sel:WORD_1 src1_sel:DWORD
	v_sub_u16_e32 v22, v0, v7
	v_mul_u32_u24_e32 v7, 10, v22
	v_lshlrev_b32_e32 v17, 2, v7
	s_waitcnt lgkmcnt(0)
	s_barrier
	global_load_dwordx4 v[7:10], v17, s[16:17]
	global_load_dwordx4 v[11:14], v17, s[16:17] offset:16
	global_load_dwordx2 v[15:16], v17, s[16:17] offset:32
	ds_read2_b32 v[17:18], v1 offset1:121
	ds_read2_b32 v[19:20], v3 offset0:114 offset1:235
	v_mul_u32_u24_sdwa v21, v21, s23 dst_sel:DWORD dst_unused:UNUSED_PAD src0_sel:WORD_1 src1_sel:DWORD
	v_lshlrev_b32_e32 v22, 2, v22
	v_add3_u32 v21, 0, v21, v22
	s_waitcnt lgkmcnt(1)
	v_lshrrev_b32_e32 v23, 16, v18
	s_waitcnt lgkmcnt(0)
	v_lshrrev_b32_e32 v24, 16, v19
	s_mul_i32 s20, s28, s34
	s_mul_i32 s18, s18, s33
	s_waitcnt vmcnt(2)
	v_mul_f16_sdwa v25, v8, v24 dst_sel:DWORD dst_unused:UNUSED_PAD src0_sel:WORD_1 src1_sel:DWORD
	v_fma_f16 v25, v8, v19, v25
	v_mul_f16_sdwa v19, v8, v19 dst_sel:DWORD dst_unused:UNUSED_PAD src0_sel:WORD_1 src1_sel:DWORD
	v_fma_f16 v24, v8, v24, -v19
	v_lshrrev_b32_e32 v8, 16, v20
	v_mul_f16_sdwa v19, v9, v8 dst_sel:DWORD dst_unused:UNUSED_PAD src0_sel:WORD_1 src1_sel:DWORD
	v_fma_f16 v26, v9, v20, v19
	v_mul_f16_sdwa v27, v9, v20 dst_sel:DWORD dst_unused:UNUSED_PAD src0_sel:WORD_1 src1_sel:DWORD
	ds_read2_b32 v[19:20], v5 offset0:100 offset1:221
	v_mul_f16_sdwa v28, v7, v18 dst_sel:DWORD dst_unused:UNUSED_PAD src0_sel:WORD_1 src1_sel:DWORD
	v_fma_f16 v28, v7, v23, -v28
	v_mul_f16_sdwa v23, v7, v23 dst_sel:DWORD dst_unused:UNUSED_PAD src0_sel:WORD_1 src1_sel:DWORD
	v_fma_f16 v18, v7, v18, v23
	v_fma_f16 v23, v9, v8, -v27
	s_waitcnt lgkmcnt(0)
	v_lshrrev_b32_e32 v7, 16, v19
	v_mul_f16_sdwa v8, v10, v19 dst_sel:DWORD dst_unused:UNUSED_PAD src0_sel:WORD_1 src1_sel:DWORD
	v_fma_f16 v27, v10, v7, -v8
	v_mul_f16_sdwa v7, v10, v7 dst_sel:DWORD dst_unused:UNUSED_PAD src0_sel:WORD_1 src1_sel:DWORD
	v_fma_f16 v19, v10, v19, v7
	ds_read2_b32 v[7:8], v4 offset0:86 offset1:207
	v_lshrrev_b32_e32 v9, 16, v20
	s_waitcnt vmcnt(1)
	v_mul_f16_sdwa v10, v11, v9 dst_sel:DWORD dst_unused:UNUSED_PAD src0_sel:WORD_1 src1_sel:DWORD
	v_fma_f16 v29, v11, v20, v10
	v_mul_f16_sdwa v10, v11, v20 dst_sel:DWORD dst_unused:UNUSED_PAD src0_sel:WORD_1 src1_sel:DWORD
	v_fma_f16 v11, v11, v9, -v10
	s_waitcnt lgkmcnt(0)
	v_lshrrev_b32_e32 v9, 16, v7
	v_mul_f16_sdwa v10, v7, v12 dst_sel:DWORD dst_unused:UNUSED_PAD src0_sel:DWORD src1_sel:WORD_1
	v_fma_f16 v20, v9, v12, -v10
	v_mul_f16_sdwa v9, v9, v12 dst_sel:DWORD dst_unused:UNUSED_PAD src0_sel:DWORD src1_sel:WORD_1
	v_fma_f16 v7, v7, v12, v9
	ds_read2_b32 v[9:10], v6 offset0:72 offset1:193
	v_lshrrev_b32_e32 v12, 16, v8
	v_mul_f16_sdwa v30, v12, v13 dst_sel:DWORD dst_unused:UNUSED_PAD src0_sel:DWORD src1_sel:WORD_1
	v_fma_f16 v30, v8, v13, v30
	v_mul_f16_sdwa v8, v8, v13 dst_sel:DWORD dst_unused:UNUSED_PAD src0_sel:DWORD src1_sel:WORD_1
	v_fma_f16 v8, v12, v13, -v8
	s_waitcnt lgkmcnt(0)
	v_lshrrev_b32_e32 v12, 16, v9
	v_mul_f16_sdwa v13, v9, v14 dst_sel:DWORD dst_unused:UNUSED_PAD src0_sel:DWORD src1_sel:WORD_1
	v_fma_f16 v13, v12, v14, -v13
	v_mul_f16_sdwa v12, v12, v14 dst_sel:DWORD dst_unused:UNUSED_PAD src0_sel:DWORD src1_sel:WORD_1
	v_fma_f16 v9, v9, v14, v12
	ds_read_b32 v14, v1 offset:4840
	v_lshrrev_b32_e32 v12, 16, v10
	s_waitcnt vmcnt(0)
	v_mul_f16_sdwa v31, v12, v15 dst_sel:DWORD dst_unused:UNUSED_PAD src0_sel:DWORD src1_sel:WORD_1
	v_fma_f16 v31, v10, v15, v31
	v_mul_f16_sdwa v10, v10, v15 dst_sel:DWORD dst_unused:UNUSED_PAD src0_sel:DWORD src1_sel:WORD_1
	v_fma_f16 v10, v12, v15, -v10
	s_waitcnt lgkmcnt(0)
	v_lshrrev_b32_e32 v12, 16, v14
	v_mul_f16_sdwa v15, v12, v16 dst_sel:DWORD dst_unused:UNUSED_PAD src0_sel:DWORD src1_sel:WORD_1
	v_fma_f16 v15, v14, v16, v15
	v_mul_f16_sdwa v14, v14, v16 dst_sel:DWORD dst_unused:UNUSED_PAD src0_sel:DWORD src1_sel:WORD_1
	v_fma_f16 v12, v12, v16, -v14
	v_sub_f16_e32 v16, v28, v12
	v_add_f16_e32 v14, v18, v15
	v_mul_f16_e32 v32, 0xb853, v16
	v_mul_f16_e32 v34, 0xbb47, v16
	;; [unrolled: 1-line block ×5, first 2 shown]
	v_fma_f16 v33, v14, s2, v32
	v_fma_f16 v32, v14, s2, -v32
	v_fma_f16 v35, v14, s3, v34
	v_fma_f16 v34, v14, s3, -v34
	;; [unrolled: 2-line block ×5, first 2 shown]
	v_add_f16_e32 v16, v28, v12
	v_sub_f16_e32 v41, v18, v15
	v_mul_f16_e32 v42, 0x3abb, v16
	v_mul_f16_e32 v44, 0x36a6, v16
	;; [unrolled: 1-line block ×5, first 2 shown]
	v_fma_f16 v43, v41, s1, v42
	v_fma_f16 v42, v41, s5, v42
	;; [unrolled: 1-line block ×10, first 2 shown]
	v_add_f16_e32 v18, v18, v17
	v_add_f16_sdwa v28, v28, v17 dst_sel:DWORD dst_unused:UNUSED_PAD src0_sel:DWORD src1_sel:WORD_1
	v_add_f16_e32 v33, v33, v17
	v_add_f16_sdwa v41, v43, v17 dst_sel:DWORD dst_unused:UNUSED_PAD src0_sel:DWORD src1_sel:WORD_1
	;; [unrolled: 2-line block ×11, first 2 shown]
	v_add_f16_e32 v17, v18, v25
	v_add_f16_e32 v17, v17, v26
	;; [unrolled: 1-line block ×17, first 2 shown]
	v_add_f16_sdwa v12, v17, v12 dst_sel:WORD_1 dst_unused:UNUSED_PAD src0_sel:DWORD src1_sel:DWORD
	v_add_f16_e32 v18, v24, v10
	v_sub_f16_e32 v10, v24, v10
	v_or_b32_e32 v12, v12, v15
	v_add_f16_e32 v15, v25, v31
	v_mul_f16_e32 v24, 0xbb47, v10
	v_sub_f16_e32 v17, v25, v31
	v_fma_f16 v25, v15, s3, v24
	v_add_f16_e32 v25, v25, v33
	v_mul_f16_e32 v28, 0x36a6, v18
	v_add_f16_e32 v33, v26, v9
	v_sub_f16_e32 v9, v26, v9
	v_add_f16_e32 v26, v23, v13
	v_sub_f16_e32 v13, v23, v13
	v_fma_f16 v31, v17, s11, v28
	v_mul_f16_e32 v23, 0xbbeb, v13
	v_add_f16_e32 v31, v31, v41
	v_fma_f16 v41, v33, s6, v23
	v_add_f16_e32 v25, v41, v25
	v_mul_f16_e32 v41, 0xb08e, v26
	v_fma_f16 v50, v9, s8, v41
	v_add_f16_e32 v31, v50, v31
	v_add_f16_e32 v50, v19, v30
	v_sub_f16_e32 v19, v19, v30
	v_add_f16_e32 v30, v27, v8
	v_sub_f16_e32 v8, v27, v8
	v_mul_f16_e32 v27, 0xba0c, v8
	v_fma_f16 v51, v50, s10, v27
	v_add_f16_e32 v25, v51, v25
	v_mul_f16_e32 v51, 0xb93d, v30
	v_fma_f16 v52, v19, s13, v51
	v_add_f16_e32 v31, v52, v31
	v_add_f16_e32 v52, v29, v7
	v_sub_f16_e32 v7, v29, v7
	v_add_f16_e32 v29, v11, v20
	v_sub_f16_e32 v11, v11, v20
	v_mul_f16_e32 v20, 0xb482, v11
	v_fma_f16 v53, v52, s12, v20
	v_add_f16_e32 v25, v53, v25
	v_mul_f16_e32 v53, 0xbbad, v29
	v_fma_f16 v54, v7, s14, v53
	v_add_f16_e32 v31, v54, v31
	v_pack_b32_f16 v22, v25, v31
	s_barrier
	ds_write2_b32 v21, v12, v22 offset1:11
	v_fma_f16 v12, v15, s3, -v24
	v_mul_f16_e32 v24, 0xba0c, v10
	v_add_f16_e32 v12, v12, v32
	v_fma_f16 v25, v15, s10, v24
	v_fma_f16 v24, v15, s10, -v24
	v_mul_f16_e32 v32, 0x3482, v10
	v_add_f16_e32 v24, v24, v34
	v_fma_f16 v34, v15, s12, v32
	v_fma_f16 v32, v15, s12, -v32
	v_fma_f16 v22, v17, s0, v28
	v_add_f16_e32 v32, v32, v36
	v_mul_f16_e32 v36, 0x3beb, v10
	v_add_f16_e32 v22, v22, v42
	v_mul_f16_e32 v28, 0xb93d, v18
	v_fma_f16 v42, v15, s6, v36
	v_fma_f16 v31, v17, s13, v28
	v_add_f16_e32 v39, v42, v39
	v_mul_f16_e32 v42, 0xb08e, v18
	v_fma_f16 v36, v15, s6, -v36
	v_mul_f16_e32 v10, 0x3853, v10
	v_add_f16_e32 v25, v25, v35
	v_add_f16_e32 v31, v31, v43
	v_mul_f16_e32 v35, 0xbbad, v18
	v_fma_f16 v43, v17, s4, v42
	v_add_f16_e32 v36, v36, v38
	v_fma_f16 v38, v17, s8, v42
	v_fma_f16 v42, v15, s2, v10
	v_mul_f16_e32 v18, 0x3abb, v18
	v_fma_f16 v10, v15, s2, -v10
	v_add_f16_e32 v10, v10, v14
	v_fma_f16 v14, v17, s1, v18
	v_fma_f16 v15, v33, s6, -v23
	v_add_f16_e32 v40, v42, v40
	v_fma_f16 v42, v17, s5, v18
	v_add_f16_e32 v14, v14, v16
	v_add_f16_e32 v12, v15, v12
	v_fma_f16 v15, v9, s4, v41
	v_mul_f16_e32 v16, 0x3482, v13
	v_mul_f16_e32 v18, 0xbbad, v26
	v_fma_f16 v28, v17, s7, v28
	v_add_f16_e32 v34, v34, v37
	v_fma_f16 v37, v17, s9, v35
	v_fma_f16 v35, v17, s14, v35
	v_add_f16_e32 v15, v15, v22
	v_fma_f16 v17, v33, s12, v16
	v_fma_f16 v22, v9, s9, v18
	v_fma_f16 v16, v33, s12, -v16
	v_mul_f16_e32 v23, 0x3b47, v13
	v_add_f16_e32 v22, v22, v31
	v_add_f16_e32 v16, v16, v24
	v_fma_f16 v24, v33, s3, v23
	v_fma_f16 v23, v33, s3, -v23
	v_mul_f16_e32 v31, 0xb853, v13
	v_add_f16_e32 v28, v28, v44
	v_add_f16_e32 v17, v17, v25
	v_fma_f16 v18, v9, s14, v18
	v_mul_f16_e32 v25, 0x36a6, v26
	v_add_f16_e32 v23, v23, v32
	v_fma_f16 v32, v33, s2, v31
	v_fma_f16 v31, v33, s2, -v31
	v_mul_f16_e32 v13, 0xba0c, v13
	v_add_f16_e32 v37, v37, v45
	v_add_f16_e32 v35, v35, v46
	;; [unrolled: 1-line block ×4, first 2 shown]
	v_fma_f16 v28, v9, s0, v25
	v_fma_f16 v25, v9, s11, v25
	v_mul_f16_e32 v34, 0x3abb, v26
	v_add_f16_e32 v31, v31, v36
	v_fma_f16 v36, v33, s10, v13
	v_mul_f16_e32 v26, 0xb93d, v26
	v_fma_f16 v13, v33, s10, -v13
	v_add_f16_e32 v28, v28, v37
	v_add_f16_e32 v25, v25, v35
	v_fma_f16 v35, v9, s1, v34
	v_fma_f16 v34, v9, s5, v34
	;; [unrolled: 1-line block ×3, first 2 shown]
	v_add_f16_e32 v10, v13, v10
	v_fma_f16 v9, v9, s7, v26
	v_fma_f16 v13, v50, s10, -v27
	v_add_f16_e32 v9, v9, v14
	v_add_f16_e32 v12, v13, v12
	v_fma_f16 v13, v19, s7, v51
	v_mul_f16_e32 v14, 0x3beb, v8
	v_add_f16_e32 v13, v13, v15
	v_fma_f16 v15, v50, s6, v14
	v_add_f16_e32 v15, v15, v17
	v_mul_f16_e32 v17, 0xb08e, v30
	v_fma_f16 v14, v50, s6, -v14
	v_fma_f16 v26, v19, s4, v17
	v_add_f16_e32 v14, v14, v16
	v_fma_f16 v16, v19, s8, v17
	v_mul_f16_e32 v17, 0xb853, v8
	v_add_f16_e32 v16, v16, v18
	v_fma_f16 v18, v50, s2, v17
	v_add_f16_e32 v18, v18, v24
	v_mul_f16_e32 v24, 0x3abb, v30
	v_fma_f16 v17, v50, s2, -v17
	v_add_f16_e32 v22, v26, v22
	v_fma_f16 v26, v19, s1, v24
	v_add_f16_e32 v17, v17, v23
	v_fma_f16 v23, v19, s5, v24
	v_mul_f16_e32 v24, 0xb482, v8
	v_add_f16_e32 v23, v23, v25
	v_fma_f16 v25, v50, s12, v24
	v_fma_f16 v24, v50, s12, -v24
	v_mul_f16_e32 v8, 0x3b47, v8
	v_mul_f16_e32 v27, 0xbbad, v30
	v_add_f16_e32 v24, v24, v31
	v_fma_f16 v31, v50, s3, v8
	v_mul_f16_e32 v30, 0x36a6, v30
	v_fma_f16 v8, v50, s3, -v8
	v_add_f16_e32 v8, v8, v10
	v_fma_f16 v10, v19, s11, v30
	v_add_f16_e32 v9, v10, v9
	v_fma_f16 v10, v52, s12, -v20
	v_add_f16_e32 v10, v10, v12
	v_fma_f16 v12, v7, s9, v53
	v_add_f16_e32 v32, v32, v39
	v_add_f16_e32 v12, v12, v13
	v_mul_f16_e32 v13, 0x3853, v11
	v_add_f16_e32 v26, v26, v28
	v_add_f16_e32 v25, v25, v32
	v_fma_f16 v28, v19, s14, v27
	v_fma_f16 v27, v19, s9, v27
	;; [unrolled: 1-line block ×4, first 2 shown]
	v_add_f16_e32 v15, v19, v15
	v_mul_f16_e32 v19, 0x3abb, v29
	v_fma_f16 v13, v52, s2, -v13
	v_add_f16_e32 v13, v13, v14
	v_fma_f16 v14, v7, s1, v19
	v_add_f16_e32 v14, v14, v16
	v_mul_f16_e32 v16, 0xba0c, v11
	v_fma_f16 v20, v7, s5, v19
	v_fma_f16 v19, v52, s10, v16
	v_add_f16_e32 v18, v19, v18
	v_mul_f16_e32 v19, 0xb93d, v29
	v_fma_f16 v16, v52, s10, -v16
	v_add_f16_e32 v20, v20, v22
	v_fma_f16 v22, v7, s13, v19
	v_add_f16_e32 v16, v16, v17
	v_fma_f16 v17, v7, s7, v19
	v_mul_f16_e32 v19, 0x3b47, v11
	v_add_f16_e32 v38, v38, v48
	v_add_f16_e32 v17, v17, v23
	v_fma_f16 v23, v52, s3, v19
	v_add_f16_e32 v43, v43, v47
	v_add_f16_e32 v34, v34, v38
	;; [unrolled: 1-line block ×3, first 2 shown]
	v_mul_f16_e32 v25, 0x36a6, v29
	v_fma_f16 v19, v52, s3, -v19
	v_add_f16_e32 v35, v35, v43
	v_add_f16_e32 v27, v27, v34
	;; [unrolled: 1-line block ×3, first 2 shown]
	v_fma_f16 v24, v7, s11, v25
	v_add_f16_e32 v28, v28, v35
	v_add_f16_e32 v22, v22, v26
	v_fma_f16 v26, v7, s0, v25
	v_add_f16_e32 v24, v24, v27
	v_mul_f16_e32 v11, 0xbbeb, v11
	v_mul_f16_e32 v27, 0xb08e, v29
	v_add_f16_e32 v26, v26, v28
	v_fma_f16 v25, v52, s6, v11
	v_fma_f16 v28, v7, s8, v27
	v_fma_f16 v11, v52, s6, -v11
	v_fma_f16 v7, v7, s4, v27
	v_add_f16_e32 v8, v11, v8
	v_add_f16_e32 v7, v7, v9
	v_pack_b32_f16 v7, v8, v7
	v_pack_b32_f16 v8, v19, v24
	ds_write2_b32 v21, v7, v8 offset0:66 offset1:77
	v_pack_b32_f16 v7, v16, v17
	v_pack_b32_f16 v8, v13, v14
	ds_write2_b32 v21, v7, v8 offset0:88 offset1:99
	v_pack_b32_f16 v7, v10, v12
	v_add_f16_e32 v42, v42, v49
	ds_write_b32 v21, v7 offset:440
	v_mul_u32_u24_e32 v7, 0x21e, v0
	v_add_f16_e32 v36, v36, v40
	v_add_f16_e32 v37, v37, v42
	v_mul_lo_u16_sdwa v8, v7, s22 dst_sel:DWORD dst_unused:UNUSED_PAD src0_sel:WORD_1 src1_sel:DWORD
	v_add_f16_e32 v31, v31, v36
	v_add_f16_e32 v32, v32, v37
	v_sub_u16_e32 v8, v0, v8
	v_add_f16_e32 v25, v25, v31
	v_add_f16_e32 v28, v28, v32
	v_pack_b32_f16 v9, v15, v20
	v_pack_b32_f16 v11, v18, v22
	v_mul_lo_u16_e32 v8, 10, v8
	ds_write2_b32 v21, v9, v11 offset0:22 offset1:33
	v_pack_b32_f16 v9, v23, v26
	v_pack_b32_f16 v11, v25, v28
	v_lshlrev_b32_e32 v18, 2, v8
	ds_write2_b32 v21, v9, v11 offset0:44 offset1:55
	s_waitcnt lgkmcnt(0)
	s_barrier
	global_load_dwordx4 v[8:11], v18, s[16:17] offset:440
	global_load_dwordx4 v[12:15], v18, s[16:17] offset:456
	global_load_dwordx2 v[16:17], v18, s[16:17] offset:472
	ds_read2_b32 v[18:19], v1 offset1:121
	ds_read2_b32 v[20:21], v3 offset0:114 offset1:235
	ds_read_b32 v1, v1 offset:4840
	s_waitcnt lgkmcnt(2)
	v_lshrrev_b32_e32 v3, 16, v19
	s_waitcnt lgkmcnt(1)
	v_lshrrev_b32_e32 v25, 16, v20
	v_lshrrev_b32_e32 v27, 16, v21
	s_waitcnt vmcnt(2)
	v_mul_f16_sdwa v22, v8, v19 dst_sel:DWORD dst_unused:UNUSED_PAD src0_sel:WORD_1 src1_sel:DWORD
	v_fma_f16 v24, v8, v3, -v22
	v_mul_f16_sdwa v22, v9, v20 dst_sel:DWORD dst_unused:UNUSED_PAD src0_sel:WORD_1 src1_sel:DWORD
	v_fma_f16 v26, v9, v25, -v22
	;; [unrolled: 2-line block ×3, first 2 shown]
	ds_read2_b32 v[22:23], v5 offset0:100 offset1:221
	v_mul_f16_sdwa v5, v9, v25 dst_sel:DWORD dst_unused:UNUSED_PAD src0_sel:WORD_1 src1_sel:DWORD
	v_fma_f16 v9, v9, v20, v5
	v_mul_f16_sdwa v5, v10, v27 dst_sel:DWORD dst_unused:UNUSED_PAD src0_sel:WORD_1 src1_sel:DWORD
	v_fma_f16 v10, v10, v21, v5
	s_waitcnt lgkmcnt(0)
	v_lshrrev_b32_e32 v5, 16, v22
	v_mul_f16_sdwa v3, v8, v3 dst_sel:DWORD dst_unused:UNUSED_PAD src0_sel:WORD_1 src1_sel:DWORD
	v_mul_f16_sdwa v20, v11, v22 dst_sel:DWORD dst_unused:UNUSED_PAD src0_sel:WORD_1 src1_sel:DWORD
	v_fma_f16 v8, v8, v19, v3
	v_mul_f16_sdwa v3, v11, v5 dst_sel:DWORD dst_unused:UNUSED_PAD src0_sel:WORD_1 src1_sel:DWORD
	v_fma_f16 v20, v11, v5, -v20
	v_fma_f16 v11, v11, v22, v3
	v_lshrrev_b32_e32 v5, 16, v23
	ds_read2_b32 v[3:4], v4 offset0:86 offset1:207
	s_waitcnt vmcnt(1)
	v_mul_f16_sdwa v21, v12, v5 dst_sel:DWORD dst_unused:UNUSED_PAD src0_sel:WORD_1 src1_sel:DWORD
	v_mul_f16_sdwa v22, v12, v23 dst_sel:DWORD dst_unused:UNUSED_PAD src0_sel:WORD_1 src1_sel:DWORD
	v_fma_f16 v21, v12, v23, v21
	v_fma_f16 v12, v12, v5, -v22
	ds_read2_b32 v[5:6], v6 offset0:72 offset1:193
	v_lshrrev_b32_e32 v19, 16, v13
	v_lshrrev_b32_e32 v23, 16, v14
	s_waitcnt lgkmcnt(1)
	v_lshrrev_b32_e32 v22, 16, v3
	v_mul_f16_e32 v25, v19, v3
	v_lshrrev_b32_e32 v27, 16, v4
	v_mul_f16_e32 v29, v23, v4
	v_mul_f16_e32 v3, v13, v3
	v_fma_f16 v13, v13, v22, -v25
	v_lshrrev_b32_e32 v25, 16, v15
	v_mul_f16_e32 v4, v14, v4
	v_fma_f16 v14, v14, v27, -v29
	s_waitcnt lgkmcnt(0)
	v_lshrrev_b32_e32 v29, 16, v5
	v_mul_f16_e32 v30, v25, v5
	v_fma_f16 v30, v15, v29, -v30
	v_mul_f16_e32 v5, v15, v5
	s_waitcnt vmcnt(0)
	v_lshrrev_b32_e32 v15, 16, v16
	v_fma_f16 v3, v22, v19, v3
	v_lshrrev_b32_e32 v19, 16, v6
	v_mul_f16_e32 v22, v15, v6
	v_mul_f16_e32 v6, v16, v6
	v_fma_f16 v6, v19, v15, v6
	v_fma_f16 v15, v16, v19, -v22
	v_lshrrev_b32_e32 v16, 16, v17
	v_lshrrev_b32_e32 v19, 16, v1
	v_mul_f16_e32 v22, v16, v1
	v_fma_f16 v22, v17, v19, -v22
	v_mul_f16_e32 v1, v17, v1
	v_fma_f16 v1, v19, v16, v1
	v_sub_f16_e32 v16, v24, v22
	v_fma_f16 v4, v27, v23, v4
	v_fma_f16 v5, v29, v25, v5
	v_mul_f16_e32 v17, 0xb853, v16
	v_mul_f16_e32 v19, 0xbb47, v16
	;; [unrolled: 1-line block ×5, first 2 shown]
	v_add_f16_e32 v27, v8, v1
	v_fma_f16 v29, v27, s12, v16
	v_fma_f16 v16, v27, s12, -v16
	v_fma_f16 v31, v27, s10, v25
	v_fma_f16 v25, v27, s10, -v25
	;; [unrolled: 2-line block ×5, first 2 shown]
	v_add_f16_e32 v27, v24, v22
	v_sub_f16_e32 v39, v8, v1
	v_add_f16_sdwa v24, v24, v18 dst_sel:DWORD dst_unused:UNUSED_PAD src0_sel:DWORD src1_sel:WORD_1
	v_add_f16_e32 v8, v8, v18
	v_add_f16_e32 v24, v24, v26
	;; [unrolled: 1-line block ×17, first 2 shown]
	v_add_f16_sdwa v22, v24, v22 dst_sel:WORD_1 dst_unused:UNUSED_PAD src0_sel:DWORD src1_sel:DWORD
	v_add_f16_e32 v1, v8, v1
	v_mul_f16_e32 v35, 0x3abb, v27
	v_mul_f16_e32 v36, 0x36a6, v27
	;; [unrolled: 1-line block ×5, first 2 shown]
	v_or_b32_e32 v8, v22, v1
	v_sub_f16_e32 v22, v26, v15
	v_fma_f16 v40, v39, s14, v27
	v_fma_f16 v27, v39, s9, v27
	;; [unrolled: 1-line block ×10, first 2 shown]
	v_add_f16_e32 v1, v9, v6
	v_mul_f16_e32 v24, 0xbb47, v22
	v_add_f16_e32 v34, v34, v18
	v_add_f16_sdwa v39, v44, v18 dst_sel:DWORD dst_unused:UNUSED_PAD src0_sel:DWORD src1_sel:WORD_1
	v_add_f16_e32 v33, v33, v18
	v_add_f16_sdwa v43, v43, v18 dst_sel:DWORD dst_unused:UNUSED_PAD src0_sel:DWORD src1_sel:WORD_1
	;; [unrolled: 2-line block ×10, first 2 shown]
	v_fma_f16 v35, v1, s3, v24
	v_sub_f16_e32 v44, v28, v30
	v_add_f16_e32 v34, v35, v34
	v_add_f16_e32 v35, v10, v5
	v_mul_f16_e32 v45, 0xbbeb, v44
	v_add_f16_e32 v15, v26, v15
	v_fma_f16 v46, v35, s6, v45
	v_sub_f16_e32 v47, v20, v14
	v_sub_f16_e32 v6, v9, v6
	v_mul_f16_e32 v9, 0x36a6, v15
	v_add_f16_e32 v28, v28, v30
	v_add_f16_e32 v34, v46, v34
	;; [unrolled: 1-line block ×3, first 2 shown]
	v_mul_f16_e32 v48, 0xba0c, v47
	v_fma_f16 v26, v6, s11, v9
	v_sub_f16_e32 v5, v10, v5
	v_mul_f16_e32 v10, 0xb08e, v28
	v_add_f16_e32 v14, v20, v14
	v_fma_f16 v49, v46, s10, v48
	v_sub_f16_e32 v50, v12, v13
	v_add_f16_e32 v26, v26, v39
	v_fma_f16 v30, v5, s8, v10
	v_sub_f16_e32 v4, v11, v4
	v_mul_f16_e32 v11, 0xb93d, v14
	v_add_f16_e32 v12, v12, v13
	v_add_f16_e32 v34, v49, v34
	;; [unrolled: 1-line block ×4, first 2 shown]
	v_fma_f16 v20, v4, s13, v11
	v_sub_f16_e32 v3, v21, v3
	v_mul_f16_e32 v13, 0xbbad, v12
	v_add_f16_e32 v20, v20, v26
	v_fma_f16 v21, v3, s14, v13
	v_add_f16_e32 v20, v21, v20
	v_mul_f16_e32 v21, 0xba0c, v22
	v_fma_f16 v26, v1, s10, v21
	v_mul_f16_e32 v30, 0x3482, v44
	v_add_f16_e32 v26, v26, v33
	v_fma_f16 v33, v35, s12, v30
	v_add_f16_e32 v26, v33, v26
	v_mul_f16_e32 v33, 0x3beb, v47
	v_mul_f16_e32 v51, 0xb482, v50
	v_fma_f16 v39, v46, s6, v33
	v_fma_f16 v52, v49, s12, v51
	v_add_f16_e32 v26, v39, v26
	v_mul_f16_e32 v39, 0x3853, v50
	v_add_f16_e32 v34, v52, v34
	v_fma_f16 v52, v49, s2, v39
	v_add_f16_e32 v26, v52, v26
	v_mul_f16_e32 v52, 0xb93d, v15
	v_fma_f16 v53, v6, s13, v52
	v_add_f16_e32 v43, v53, v43
	v_mul_f16_e32 v53, 0xbbad, v28
	;; [unrolled: 3-line block ×20, first 2 shown]
	v_fma_f16 v72, v3, s0, v71
	v_mul_f16_e32 v22, 0x3853, v22
	v_add_f16_e32 v41, v72, v41
	v_fma_f16 v72, v1, s2, v22
	v_mul_f16_e32 v44, 0xba0c, v44
	v_add_f16_e32 v29, v72, v29
	v_fma_f16 v72, v35, s10, v44
	v_mul_f16_e32 v47, 0x3b47, v47
	v_fma_f16 v22, v1, s2, -v22
	v_add_f16_e32 v29, v72, v29
	v_fma_f16 v72, v46, s3, v47
	v_mul_f16_e32 v50, 0xbbeb, v50
	v_add_f16_e32 v16, v22, v16
	v_fma_f16 v22, v35, s10, -v44
	v_add_f16_e32 v29, v72, v29
	v_fma_f16 v72, v49, s6, v50
	v_mul_f16_e32 v15, 0x3abb, v15
	v_add_f16_e32 v16, v22, v16
	;; [unrolled: 5-line block ×3, first 2 shown]
	v_fma_f16 v22, v49, s6, -v50
	v_fma_f16 v15, v6, s1, v15
	v_add_f16_e32 v40, v72, v40
	v_fma_f16 v72, v5, s13, v28
	v_mul_f16_e32 v14, 0x36a6, v14
	v_add_f16_e32 v16, v22, v16
	v_add_f16_e32 v15, v15, v27
	v_fma_f16 v22, v5, s7, v28
	v_add_f16_e32 v40, v72, v40
	v_fma_f16 v72, v4, s0, v14
	v_mul_f16_e32 v12, 0xb08e, v12
	v_add_f16_e32 v15, v22, v15
	v_fma_f16 v14, v4, s11, v14
	v_add_f16_e32 v40, v72, v40
	v_fma_f16 v72, v3, s8, v12
	v_add_f16_e32 v14, v14, v15
	v_fma_f16 v12, v3, s4, v12
	v_add_f16_e32 v12, v12, v14
	v_fma_f16 v14, v1, s6, -v64
	v_add_f16_e32 v14, v14, v25
	v_fma_f16 v15, v35, s2, -v65
	;; [unrolled: 2-line block ×4, first 2 shown]
	v_add_f16_e32 v14, v15, v14
	v_fma_f16 v15, v6, s8, v68
	v_add_f16_e32 v15, v15, v38
	v_fma_f16 v22, v5, s5, v69
	;; [unrolled: 2-line block ×4, first 2 shown]
	v_add_f16_e32 v15, v22, v15
	v_fma_f16 v22, v1, s12, -v56
	v_add_f16_e32 v22, v22, v23
	v_fma_f16 v23, v35, s3, -v57
	v_add_f16_e32 v22, v23, v22
	v_fma_f16 v23, v46, s2, -v58
	v_add_f16_e32 v22, v23, v22
	v_fma_f16 v23, v49, s10, -v59
	v_fma_f16 v21, v1, s10, -v21
	v_fma_f16 v1, v1, s3, -v24
	v_add_f16_e32 v22, v23, v22
	v_fma_f16 v23, v6, s14, v60
	v_add_f16_e32 v19, v21, v19
	v_fma_f16 v21, v35, s12, -v30
	v_add_f16_e32 v1, v1, v17
	v_fma_f16 v17, v35, s6, -v45
	v_add_f16_e32 v23, v23, v37
	v_fma_f16 v25, v5, s11, v61
	v_add_f16_e32 v19, v21, v19
	v_fma_f16 v21, v46, s6, -v33
	v_add_f16_e32 v1, v17, v1
	;; [unrolled: 6-line block ×3, first 2 shown]
	v_fma_f16 v17, v49, s12, -v51
	v_add_f16_e32 v23, v25, v23
	v_fma_f16 v25, v3, s7, v63
	v_add_f16_e32 v19, v21, v19
	v_fma_f16 v21, v6, s7, v52
	;; [unrolled: 2-line block ×3, first 2 shown]
	v_add_f16_e32 v23, v25, v23
	v_add_f16_e32 v21, v21, v36
	v_fma_f16 v25, v5, s14, v53
	v_add_f16_e32 v1, v1, v18
	v_fma_f16 v5, v5, s4, v10
	v_add_f16_e32 v21, v25, v21
	v_fma_f16 v25, v4, s8, v54
	v_add_f16_e32 v1, v5, v1
	v_fma_f16 v4, v4, s7, v11
	v_add_f16_e32 v21, v25, v21
	v_fma_f16 v25, v3, s1, v55
	s_movk_i32 s0, 0x4ba
	v_add_f16_e32 v1, v4, v1
	v_fma_f16 v3, v3, s9, v13
	v_add_f16_e32 v5, v3, v1
	v_mul_lo_u16_sdwa v1, v7, s0 dst_sel:DWORD dst_unused:UNUSED_PAD src0_sel:WORD_1 src1_sel:DWORD
	v_add_u32_e32 v0, v0, v1
	s_lshl_b64 s[0:1], s[20:21], 2
	v_mul_lo_u32 v1, v0, s35
	s_add_u32 s2, s26, s0
	s_addc_u32 s3, s27, s1
	s_lshl_b64 s[0:1], s[30:31], 2
	s_add_u32 s2, s2, s0
	s_addc_u32 s3, s3, s1
	s_lshl_b64 s[0:1], s[18:19], 2
	s_add_u32 s0, s2, s0
	v_lshlrev_b64 v[3:4], 2, v[1:2]
	s_addc_u32 s1, s3, s1
	v_mov_b32_e32 v0, s1
	v_add_co_u32_e32 v3, vcc, s0, v3
	s_mulk_i32 s35, 0x79
	v_addc_co_u32_e32 v4, vcc, v0, v4, vcc
	v_add_u32_e32 v1, s35, v1
	global_store_dword v[3:4], v8, off
	v_lshlrev_b64 v[3:4], 2, v[1:2]
	v_add_u32_e32 v1, s35, v1
	v_add_co_u32_e32 v3, vcc, s0, v3
	v_addc_co_u32_e32 v4, vcc, v0, v4, vcc
	v_pack_b32_f16 v0, v34, v20
	global_store_dword v[3:4], v0, off
	v_lshlrev_b64 v[3:4], 2, v[1:2]
	v_mov_b32_e32 v0, s1
	v_add_co_u32_e32 v3, vcc, s0, v3
	v_addc_co_u32_e32 v4, vcc, v0, v4, vcc
	v_pack_b32_f16 v0, v26, v43
	v_add_u32_e32 v1, s35, v1
	global_store_dword v[3:4], v0, off
	v_lshlrev_b64 v[3:4], 2, v[1:2]
	v_mov_b32_e32 v0, s1
	v_add_co_u32_e32 v3, vcc, s0, v3
	v_addc_co_u32_e32 v4, vcc, v0, v4, vcc
	v_pack_b32_f16 v0, v32, v42
	v_add_u32_e32 v1, s35, v1
	;; [unrolled: 7-line block ×3, first 2 shown]
	global_store_dword v[3:4], v0, off
	v_lshlrev_b64 v[3:4], 2, v[1:2]
	v_add_f16_e32 v40, v72, v40
	v_mov_b32_e32 v0, s1
	v_add_co_u32_e32 v3, vcc, s0, v3
	v_addc_co_u32_e32 v4, vcc, v0, v4, vcc
	v_pack_b32_f16 v0, v29, v40
	v_add_u32_e32 v1, s35, v1
	global_store_dword v[3:4], v0, off
	v_lshlrev_b64 v[3:4], 2, v[1:2]
	v_mov_b32_e32 v0, s1
	v_add_co_u32_e32 v3, vcc, s0, v3
	v_addc_co_u32_e32 v4, vcc, v0, v4, vcc
	v_pack_b32_f16 v0, v16, v12
	v_add_u32_e32 v1, s35, v1
	global_store_dword v[3:4], v0, off
	v_lshlrev_b64 v[3:4], 2, v[1:2]
	;; [unrolled: 7-line block ×4, first 2 shown]
	v_add_f16_e32 v21, v25, v21
	v_mov_b32_e32 v0, s1
	v_add_co_u32_e32 v3, vcc, s0, v3
	v_addc_co_u32_e32 v4, vcc, v0, v4, vcc
	v_pack_b32_f16 v0, v19, v21
	v_add_u32_e32 v1, s35, v1
	global_store_dword v[3:4], v0, off
	v_lshlrev_b64 v[0:1], 2, v[1:2]
	v_mov_b32_e32 v2, s1
	v_add_co_u32_e32 v0, vcc, s0, v0
	v_addc_co_u32_e32 v1, vcc, v2, v1, vcc
	v_pack_b32_f16 v2, v17, v5
	global_store_dword v[0:1], v2, off
	s_endpgm
	.section	.rodata,"a",@progbits
	.p2align	6, 0x0
	.amdhsa_kernel fft_rtc_back_len1331_factors_11_11_11_wgs_121_tpt_121_half_op_CI_CI_sbrc_z_xy_unaligned_dirReg
		.amdhsa_group_segment_fixed_size 0
		.amdhsa_private_segment_fixed_size 0
		.amdhsa_kernarg_size 104
		.amdhsa_user_sgpr_count 6
		.amdhsa_user_sgpr_private_segment_buffer 1
		.amdhsa_user_sgpr_dispatch_ptr 0
		.amdhsa_user_sgpr_queue_ptr 0
		.amdhsa_user_sgpr_kernarg_segment_ptr 1
		.amdhsa_user_sgpr_dispatch_id 0
		.amdhsa_user_sgpr_flat_scratch_init 0
		.amdhsa_user_sgpr_private_segment_size 0
		.amdhsa_uses_dynamic_stack 0
		.amdhsa_system_sgpr_private_segment_wavefront_offset 0
		.amdhsa_system_sgpr_workgroup_id_x 1
		.amdhsa_system_sgpr_workgroup_id_y 0
		.amdhsa_system_sgpr_workgroup_id_z 0
		.amdhsa_system_sgpr_workgroup_info 0
		.amdhsa_system_vgpr_workitem_id 0
		.amdhsa_next_free_vgpr 73
		.amdhsa_next_free_sgpr 36
		.amdhsa_reserve_vcc 1
		.amdhsa_reserve_flat_scratch 0
		.amdhsa_float_round_mode_32 0
		.amdhsa_float_round_mode_16_64 0
		.amdhsa_float_denorm_mode_32 3
		.amdhsa_float_denorm_mode_16_64 3
		.amdhsa_dx10_clamp 1
		.amdhsa_ieee_mode 1
		.amdhsa_fp16_overflow 0
		.amdhsa_exception_fp_ieee_invalid_op 0
		.amdhsa_exception_fp_denorm_src 0
		.amdhsa_exception_fp_ieee_div_zero 0
		.amdhsa_exception_fp_ieee_overflow 0
		.amdhsa_exception_fp_ieee_underflow 0
		.amdhsa_exception_fp_ieee_inexact 0
		.amdhsa_exception_int_div_zero 0
	.end_amdhsa_kernel
	.text
.Lfunc_end0:
	.size	fft_rtc_back_len1331_factors_11_11_11_wgs_121_tpt_121_half_op_CI_CI_sbrc_z_xy_unaligned_dirReg, .Lfunc_end0-fft_rtc_back_len1331_factors_11_11_11_wgs_121_tpt_121_half_op_CI_CI_sbrc_z_xy_unaligned_dirReg
                                        ; -- End function
	.section	.AMDGPU.csdata,"",@progbits
; Kernel info:
; codeLenInByte = 9476
; NumSgprs: 40
; NumVgprs: 73
; ScratchSize: 0
; MemoryBound: 0
; FloatMode: 240
; IeeeMode: 1
; LDSByteSize: 0 bytes/workgroup (compile time only)
; SGPRBlocks: 4
; VGPRBlocks: 18
; NumSGPRsForWavesPerEU: 40
; NumVGPRsForWavesPerEU: 73
; Occupancy: 3
; WaveLimiterHint : 1
; COMPUTE_PGM_RSRC2:SCRATCH_EN: 0
; COMPUTE_PGM_RSRC2:USER_SGPR: 6
; COMPUTE_PGM_RSRC2:TRAP_HANDLER: 0
; COMPUTE_PGM_RSRC2:TGID_X_EN: 1
; COMPUTE_PGM_RSRC2:TGID_Y_EN: 0
; COMPUTE_PGM_RSRC2:TGID_Z_EN: 0
; COMPUTE_PGM_RSRC2:TIDIG_COMP_CNT: 0
	.type	__hip_cuid_abffe43edfda253b,@object ; @__hip_cuid_abffe43edfda253b
	.section	.bss,"aw",@nobits
	.globl	__hip_cuid_abffe43edfda253b
__hip_cuid_abffe43edfda253b:
	.byte	0                               ; 0x0
	.size	__hip_cuid_abffe43edfda253b, 1

	.ident	"AMD clang version 19.0.0git (https://github.com/RadeonOpenCompute/llvm-project roc-6.4.0 25133 c7fe45cf4b819c5991fe208aaa96edf142730f1d)"
	.section	".note.GNU-stack","",@progbits
	.addrsig
	.addrsig_sym __hip_cuid_abffe43edfda253b
	.amdgpu_metadata
---
amdhsa.kernels:
  - .args:
      - .actual_access:  read_only
        .address_space:  global
        .offset:         0
        .size:           8
        .value_kind:     global_buffer
      - .offset:         8
        .size:           8
        .value_kind:     by_value
      - .actual_access:  read_only
        .address_space:  global
        .offset:         16
        .size:           8
        .value_kind:     global_buffer
      - .actual_access:  read_only
        .address_space:  global
        .offset:         24
        .size:           8
        .value_kind:     global_buffer
      - .actual_access:  read_only
        .address_space:  global
        .offset:         32
        .size:           8
        .value_kind:     global_buffer
      - .offset:         40
        .size:           8
        .value_kind:     by_value
      - .actual_access:  read_only
        .address_space:  global
        .offset:         48
        .size:           8
        .value_kind:     global_buffer
      - .actual_access:  read_only
        .address_space:  global
        .offset:         56
        .size:           8
        .value_kind:     global_buffer
      - .offset:         64
        .size:           4
        .value_kind:     by_value
      - .actual_access:  read_only
        .address_space:  global
        .offset:         72
        .size:           8
        .value_kind:     global_buffer
      - .actual_access:  read_only
        .address_space:  global
        .offset:         80
        .size:           8
        .value_kind:     global_buffer
      - .actual_access:  read_only
        .address_space:  global
        .offset:         88
        .size:           8
        .value_kind:     global_buffer
      - .actual_access:  write_only
        .address_space:  global
        .offset:         96
        .size:           8
        .value_kind:     global_buffer
    .group_segment_fixed_size: 0
    .kernarg_segment_align: 8
    .kernarg_segment_size: 104
    .language:       OpenCL C
    .language_version:
      - 2
      - 0
    .max_flat_workgroup_size: 121
    .name:           fft_rtc_back_len1331_factors_11_11_11_wgs_121_tpt_121_half_op_CI_CI_sbrc_z_xy_unaligned_dirReg
    .private_segment_fixed_size: 0
    .sgpr_count:     40
    .sgpr_spill_count: 0
    .symbol:         fft_rtc_back_len1331_factors_11_11_11_wgs_121_tpt_121_half_op_CI_CI_sbrc_z_xy_unaligned_dirReg.kd
    .uniform_work_group_size: 1
    .uses_dynamic_stack: false
    .vgpr_count:     73
    .vgpr_spill_count: 0
    .wavefront_size: 64
amdhsa.target:   amdgcn-amd-amdhsa--gfx906
amdhsa.version:
  - 1
  - 2
...

	.end_amdgpu_metadata
